;; amdgpu-corpus repo=ROCm/rocFFT kind=compiled arch=gfx950 opt=O3
	.text
	.amdgcn_target "amdgcn-amd-amdhsa--gfx950"
	.amdhsa_code_object_version 6
	.protected	fft_rtc_fwd_len208_factors_13_16_wgs_64_tpt_16_halfLds_sp_ip_CI_sbrr_dirReg ; -- Begin function fft_rtc_fwd_len208_factors_13_16_wgs_64_tpt_16_halfLds_sp_ip_CI_sbrr_dirReg
	.globl	fft_rtc_fwd_len208_factors_13_16_wgs_64_tpt_16_halfLds_sp_ip_CI_sbrr_dirReg
	.p2align	8
	.type	fft_rtc_fwd_len208_factors_13_16_wgs_64_tpt_16_halfLds_sp_ip_CI_sbrr_dirReg,@function
fft_rtc_fwd_len208_factors_13_16_wgs_64_tpt_16_halfLds_sp_ip_CI_sbrr_dirReg: ; @fft_rtc_fwd_len208_factors_13_16_wgs_64_tpt_16_halfLds_sp_ip_CI_sbrr_dirReg
; %bb.0:
	s_load_dwordx2 s[12:13], s[0:1], 0x18
	s_load_dwordx4 s[4:7], s[0:1], 0x0
	s_load_dwordx2 s[10:11], s[0:1], 0x50
	v_lshrrev_b32_e32 v44, 4, v0
	v_lshl_or_b32 v6, s2, 2, v44
	s_waitcnt lgkmcnt(0)
	s_load_dwordx2 s[8:9], s[12:13], 0x0
	v_mov_b32_e32 v4, 0
	v_cmp_lt_u64_e64 s[2:3], s[6:7], 2
	v_mov_b32_e32 v7, v4
	s_and_b64 vcc, exec, s[2:3]
	v_mov_b64_e32 v[2:3], 0
	s_cbranch_vccnz .LBB0_8
; %bb.1:
	s_load_dwordx2 s[2:3], s[0:1], 0x10
	s_add_u32 s14, s12, 8
	s_addc_u32 s15, s13, 0
	s_mov_b64 s[16:17], 1
	v_mov_b64_e32 v[2:3], 0
	s_waitcnt lgkmcnt(0)
	s_add_u32 s18, s2, 8
	s_addc_u32 s19, s3, 0
.LBB0_2:                                ; =>This Inner Loop Header: Depth=1
	s_load_dwordx2 s[20:21], s[18:19], 0x0
                                        ; implicit-def: $vgpr8_vgpr9
	s_waitcnt lgkmcnt(0)
	v_or_b32_e32 v5, s21, v7
	v_cmp_ne_u64_e32 vcc, 0, v[4:5]
	s_and_saveexec_b64 s[2:3], vcc
	s_xor_b64 s[22:23], exec, s[2:3]
	s_cbranch_execz .LBB0_4
; %bb.3:                                ;   in Loop: Header=BB0_2 Depth=1
	v_cvt_f32_u32_e32 v1, s20
	v_cvt_f32_u32_e32 v5, s21
	s_sub_u32 s2, 0, s20
	s_subb_u32 s3, 0, s21
	v_fmac_f32_e32 v1, 0x4f800000, v5
	v_rcp_f32_e32 v1, v1
	s_nop 0
	v_mul_f32_e32 v1, 0x5f7ffffc, v1
	v_mul_f32_e32 v5, 0x2f800000, v1
	v_trunc_f32_e32 v5, v5
	v_fmac_f32_e32 v1, 0xcf800000, v5
	v_cvt_u32_f32_e32 v5, v5
	v_cvt_u32_f32_e32 v1, v1
	v_mul_lo_u32 v8, s2, v5
	v_mul_hi_u32 v10, s2, v1
	v_mul_lo_u32 v9, s3, v1
	v_add_u32_e32 v10, v10, v8
	v_mul_lo_u32 v12, s2, v1
	v_add_u32_e32 v13, v10, v9
	v_mul_hi_u32 v8, v1, v12
	v_mul_hi_u32 v11, v1, v13
	v_mul_lo_u32 v10, v1, v13
	v_mov_b32_e32 v9, v4
	v_lshl_add_u64 v[8:9], v[8:9], 0, v[10:11]
	v_mul_hi_u32 v11, v5, v12
	v_mul_lo_u32 v12, v5, v12
	v_add_co_u32_e32 v8, vcc, v8, v12
	v_mul_hi_u32 v10, v5, v13
	s_nop 0
	v_addc_co_u32_e32 v8, vcc, v9, v11, vcc
	v_mov_b32_e32 v9, v4
	s_nop 0
	v_addc_co_u32_e32 v11, vcc, 0, v10, vcc
	v_mul_lo_u32 v10, v5, v13
	v_lshl_add_u64 v[8:9], v[8:9], 0, v[10:11]
	v_add_co_u32_e32 v1, vcc, v1, v8
	v_mul_lo_u32 v10, s2, v1
	s_nop 0
	v_addc_co_u32_e32 v5, vcc, v5, v9, vcc
	v_mul_lo_u32 v8, s2, v5
	v_mul_hi_u32 v9, s2, v1
	v_add_u32_e32 v8, v9, v8
	v_mul_lo_u32 v9, s3, v1
	v_add_u32_e32 v12, v8, v9
	v_mul_hi_u32 v14, v5, v10
	v_mul_lo_u32 v15, v5, v10
	v_mul_hi_u32 v9, v1, v12
	v_mul_lo_u32 v8, v1, v12
	v_mul_hi_u32 v10, v1, v10
	v_mov_b32_e32 v11, v4
	v_lshl_add_u64 v[8:9], v[10:11], 0, v[8:9]
	v_add_co_u32_e32 v8, vcc, v8, v15
	v_mul_hi_u32 v13, v5, v12
	s_nop 0
	v_addc_co_u32_e32 v8, vcc, v9, v14, vcc
	v_mul_lo_u32 v10, v5, v12
	s_nop 0
	v_addc_co_u32_e32 v11, vcc, 0, v13, vcc
	v_mov_b32_e32 v9, v4
	v_lshl_add_u64 v[8:9], v[8:9], 0, v[10:11]
	v_add_co_u32_e32 v1, vcc, v1, v8
	v_mul_hi_u32 v10, v6, v1
	s_nop 0
	v_addc_co_u32_e32 v5, vcc, v5, v9, vcc
	v_mad_u64_u32 v[8:9], s[2:3], v6, v5, 0
	v_mov_b32_e32 v11, v4
	v_lshl_add_u64 v[8:9], v[10:11], 0, v[8:9]
	v_mad_u64_u32 v[12:13], s[2:3], v7, v1, 0
	v_add_co_u32_e32 v1, vcc, v8, v12
	v_mad_u64_u32 v[10:11], s[2:3], v7, v5, 0
	s_nop 0
	v_addc_co_u32_e32 v8, vcc, v9, v13, vcc
	v_mov_b32_e32 v9, v4
	s_nop 0
	v_addc_co_u32_e32 v11, vcc, 0, v11, vcc
	v_lshl_add_u64 v[8:9], v[8:9], 0, v[10:11]
	v_mul_lo_u32 v1, s21, v8
	v_mul_lo_u32 v5, s20, v9
	v_mad_u64_u32 v[10:11], s[2:3], s20, v8, 0
	v_add3_u32 v1, v11, v5, v1
	v_sub_u32_e32 v5, v7, v1
	v_mov_b32_e32 v11, s21
	v_sub_co_u32_e32 v14, vcc, v6, v10
	v_lshl_add_u64 v[12:13], v[8:9], 0, 1
	s_nop 0
	v_subb_co_u32_e64 v5, s[2:3], v5, v11, vcc
	v_subrev_co_u32_e64 v10, s[2:3], s20, v14
	v_subb_co_u32_e32 v1, vcc, v7, v1, vcc
	s_nop 0
	v_subbrev_co_u32_e64 v5, s[2:3], 0, v5, s[2:3]
	v_cmp_le_u32_e64 s[2:3], s21, v5
	v_cmp_le_u32_e32 vcc, s21, v1
	s_nop 0
	v_cndmask_b32_e64 v11, 0, -1, s[2:3]
	v_cmp_le_u32_e64 s[2:3], s20, v10
	s_nop 1
	v_cndmask_b32_e64 v10, 0, -1, s[2:3]
	v_cmp_eq_u32_e64 s[2:3], s21, v5
	s_nop 1
	v_cndmask_b32_e64 v5, v11, v10, s[2:3]
	v_lshl_add_u64 v[10:11], v[8:9], 0, 2
	v_cmp_ne_u32_e64 s[2:3], 0, v5
	s_nop 1
	v_cndmask_b32_e64 v5, v13, v11, s[2:3]
	v_cndmask_b32_e64 v11, 0, -1, vcc
	v_cmp_le_u32_e32 vcc, s20, v14
	s_nop 1
	v_cndmask_b32_e64 v13, 0, -1, vcc
	v_cmp_eq_u32_e32 vcc, s21, v1
	s_nop 1
	v_cndmask_b32_e32 v1, v11, v13, vcc
	v_cmp_ne_u32_e32 vcc, 0, v1
	v_cndmask_b32_e64 v1, v12, v10, s[2:3]
	s_nop 0
	v_cndmask_b32_e32 v9, v9, v5, vcc
	v_cndmask_b32_e32 v8, v8, v1, vcc
.LBB0_4:                                ;   in Loop: Header=BB0_2 Depth=1
	s_andn2_saveexec_b64 s[2:3], s[22:23]
	s_cbranch_execz .LBB0_6
; %bb.5:                                ;   in Loop: Header=BB0_2 Depth=1
	v_cvt_f32_u32_e32 v1, s20
	s_sub_i32 s22, 0, s20
	v_rcp_iflag_f32_e32 v1, v1
	s_nop 0
	v_mul_f32_e32 v1, 0x4f7ffffe, v1
	v_cvt_u32_f32_e32 v1, v1
	v_mul_lo_u32 v5, s22, v1
	v_mul_hi_u32 v5, v1, v5
	v_add_u32_e32 v1, v1, v5
	v_mul_hi_u32 v1, v6, v1
	v_mul_lo_u32 v5, v1, s20
	v_sub_u32_e32 v5, v6, v5
	v_add_u32_e32 v8, 1, v1
	v_subrev_u32_e32 v9, s20, v5
	v_cmp_le_u32_e32 vcc, s20, v5
	s_nop 1
	v_cndmask_b32_e32 v5, v5, v9, vcc
	v_cndmask_b32_e32 v1, v1, v8, vcc
	v_add_u32_e32 v8, 1, v1
	v_cmp_le_u32_e32 vcc, s20, v5
	v_mov_b32_e32 v9, v4
	s_nop 0
	v_cndmask_b32_e32 v8, v1, v8, vcc
.LBB0_6:                                ;   in Loop: Header=BB0_2 Depth=1
	s_or_b64 exec, exec, s[2:3]
	v_mad_u64_u32 v[10:11], s[2:3], v8, s20, 0
	s_load_dwordx2 s[2:3], s[14:15], 0x0
	v_mul_lo_u32 v1, v9, s20
	v_mul_lo_u32 v5, v8, s21
	v_add3_u32 v1, v11, v5, v1
	v_sub_co_u32_e32 v5, vcc, v6, v10
	s_add_u32 s16, s16, 1
	s_nop 0
	v_subb_co_u32_e32 v1, vcc, v7, v1, vcc
	s_addc_u32 s17, s17, 0
	s_waitcnt lgkmcnt(0)
	v_mul_lo_u32 v1, s2, v1
	v_mul_lo_u32 v6, s3, v5
	v_mad_u64_u32 v[2:3], s[2:3], s2, v5, v[2:3]
	s_add_u32 s14, s14, 8
	v_add3_u32 v3, v6, v3, v1
	s_addc_u32 s15, s15, 0
	v_mov_b64_e32 v[6:7], s[6:7]
	s_add_u32 s18, s18, 8
	v_cmp_ge_u64_e32 vcc, s[16:17], v[6:7]
	s_addc_u32 s19, s19, 0
	s_cbranch_vccnz .LBB0_9
; %bb.7:                                ;   in Loop: Header=BB0_2 Depth=1
	v_mov_b64_e32 v[6:7], v[8:9]
	s_branch .LBB0_2
.LBB0_8:
	v_mov_b64_e32 v[8:9], v[6:7]
.LBB0_9:
	s_lshl_b64 s[2:3], s[6:7], 3
	s_add_u32 s2, s12, s2
	s_addc_u32 s3, s13, s3
	s_load_dwordx2 s[6:7], s[2:3], 0x0
	s_load_dwordx2 s[12:13], s[0:1], 0x20
	v_and_b32_e32 v66, 15, v0
	v_mov_b64_e32 v[6:7], 0
                                        ; implicit-def: $vgpr39
                                        ; implicit-def: $vgpr36
                                        ; implicit-def: $vgpr26
                                        ; implicit-def: $vgpr18
                                        ; implicit-def: $vgpr16
                                        ; implicit-def: $vgpr12
                                        ; implicit-def: $vgpr14
                                        ; implicit-def: $vgpr20
                                        ; implicit-def: $vgpr22
                                        ; implicit-def: $vgpr10
                                        ; implicit-def: $vgpr45
                                        ; implicit-def: $vgpr48
                                        ; implicit-def: $vgpr47
                                        ; implicit-def: $vgpr43
	s_waitcnt lgkmcnt(0)
	v_mul_lo_u32 v1, s6, v9
	v_mul_lo_u32 v4, s7, v8
	v_mad_u64_u32 v[2:3], s[0:1], s6, v8, v[2:3]
	v_add3_u32 v3, v4, v3, v1
	v_cmp_gt_u64_e32 vcc, s[12:13], v[8:9]
	v_lshl_add_u64 v[0:1], v[2:3], 3, s[10:11]
                                        ; implicit-def: $vgpr8
	s_and_saveexec_b64 s[0:1], vcc
	s_cbranch_execz .LBB0_11
; %bb.10:
	v_mad_u64_u32 v[2:3], s[2:3], s8, v66, 0
	v_mov_b32_e32 v4, v3
	v_mad_u64_u32 v[4:5], s[2:3], s9, v66, v[4:5]
	v_or_b32_e32 v7, 16, v66
	v_mov_b32_e32 v3, v4
	v_mad_u64_u32 v[4:5], s[2:3], s8, v7, 0
	v_mov_b32_e32 v6, v5
	v_mad_u64_u32 v[6:7], s[2:3], s9, v7, v[6:7]
	v_mov_b32_e32 v5, v6
	v_lshl_add_u64 v[4:5], v[4:5], 3, v[0:1]
	v_or_b32_e32 v7, 32, v66
	global_load_dwordx2 v[8:9], v[4:5], off
	v_mad_u64_u32 v[4:5], s[2:3], s8, v7, 0
	v_mov_b32_e32 v6, v5
	v_mad_u64_u32 v[6:7], s[2:3], s9, v7, v[6:7]
	v_or_b32_e32 v11, 48, v66
	v_mov_b32_e32 v5, v6
	v_mad_u64_u32 v[6:7], s[2:3], s8, v11, 0
	v_mov_b32_e32 v10, v7
	v_mad_u64_u32 v[10:11], s[2:3], s9, v11, v[10:11]
	v_or_b32_e32 v13, 64, v66
	v_mov_b32_e32 v7, v10
	;; [unrolled: 5-line block ×3, first 2 shown]
	v_mad_u64_u32 v[12:13], s[2:3], s8, v15, 0
	v_mov_b32_e32 v14, v13
	v_mad_u64_u32 v[14:15], s[2:3], s9, v15, v[14:15]
	v_mov_b32_e32 v13, v14
	v_or_b32_e32 v15, 0x60, v66
	v_lshl_add_u64 v[16:17], v[12:13], 3, v[0:1]
	v_mad_u64_u32 v[12:13], s[2:3], s8, v15, 0
	v_mov_b32_e32 v14, v13
	v_mad_u64_u32 v[14:15], s[2:3], s9, v15, v[14:15]
	v_mov_b32_e32 v13, v14
	v_or_b32_e32 v15, 0x70, v66
	v_lshl_add_u64 v[18:19], v[12:13], 3, v[0:1]
	v_mad_u64_u32 v[12:13], s[2:3], s8, v15, 0
	v_mov_b32_e32 v14, v13
	v_mad_u64_u32 v[14:15], s[2:3], s9, v15, v[14:15]
	v_or_b32_e32 v21, 0x80, v66
	v_mov_b32_e32 v13, v14
	v_mad_u64_u32 v[14:15], s[2:3], s8, v21, 0
	v_mov_b32_e32 v20, v15
	v_mad_u64_u32 v[20:21], s[2:3], s9, v21, v[20:21]
	v_or_b32_e32 v23, 0x90, v66
	v_mov_b32_e32 v15, v20
	;; [unrolled: 5-line block ×3, first 2 shown]
	v_mad_u64_u32 v[22:23], s[2:3], s8, v25, 0
	v_mov_b32_e32 v24, v23
	v_mad_u64_u32 v[24:25], s[2:3], s9, v25, v[24:25]
	v_mov_b32_e32 v23, v24
	v_or_b32_e32 v27, 0xb0, v66
	v_lshl_add_u64 v[24:25], v[22:23], 3, v[0:1]
	v_mad_u64_u32 v[22:23], s[2:3], s8, v27, 0
	v_mov_b32_e32 v26, v23
	v_mad_u64_u32 v[26:27], s[2:3], s9, v27, v[26:27]
	v_lshl_add_u64 v[10:11], v[10:11], 3, v[0:1]
	v_lshl_add_u64 v[14:15], v[14:15], 3, v[0:1]
	;; [unrolled: 1-line block ×3, first 2 shown]
	v_mov_b32_e32 v23, v26
	v_lshl_add_u64 v[26:27], v[22:23], 3, v[0:1]
	global_load_dwordx2 v[28:29], v[14:15], off
	global_load_dwordx2 v[22:23], v[20:21], off
	;; [unrolled: 1-line block ×4, first 2 shown]
	v_lshl_add_u64 v[20:21], v[12:13], 3, v[0:1]
	global_load_dwordx2 v[24:25], v[10:11], off
	global_load_dwordx2 v[34:35], v[16:17], off
	global_load_dwordx2 v[12:13], v[18:19], off
	global_load_dwordx2 v[14:15], v[20:21], off
	v_or_b32_e32 v17, 0xc0, v66
	v_mad_u64_u32 v[10:11], s[2:3], s8, v17, 0
	v_mov_b32_e32 v16, v11
	v_mad_u64_u32 v[16:17], s[2:3], s9, v17, v[16:17]
	v_mov_b32_e32 v11, v16
	v_lshl_add_u64 v[4:5], v[4:5], 3, v[0:1]
	v_lshl_add_u64 v[10:11], v[10:11], 3, v[0:1]
	global_load_dwordx2 v[36:37], v[10:11], off
	global_load_dwordx2 v[40:41], v[4:5], off
	v_lshl_add_u64 v[4:5], v[6:7], 3, v[0:1]
	v_lshl_add_u64 v[2:3], v[2:3], 3, v[0:1]
	global_load_dwordx2 v[42:43], v[4:5], off
	global_load_dwordx2 v[6:7], v[2:3], off
	s_waitcnt vmcnt(12)
	v_mov_b32_e32 v26, v9
	s_waitcnt vmcnt(11)
	v_mov_b32_e32 v17, v29
	;; [unrolled: 2-line block ×4, first 2 shown]
	v_mov_b32_e32 v39, v32
	v_mov_b32_e32 v9, v24
	s_waitcnt vmcnt(5)
	v_mov_b32_e32 v18, v13
	v_mov_b32_e32 v19, v35
	s_waitcnt vmcnt(4)
	v_mov_b32_e32 v16, v15
	v_mov_b32_e32 v13, v34
	;; [unrolled: 1-line block ×6, first 2 shown]
	s_waitcnt vmcnt(3)
	v_mov_b32_e32 v11, v37
	s_waitcnt vmcnt(2)
	v_mov_b32_e32 v45, v40
	v_mov_b32_e32 v48, v41
	s_waitcnt vmcnt(1)
	v_mov_b32_e32 v47, v42
.LBB0_11:
	s_or_b64 exec, exec, s[0:1]
	s_waitcnt vmcnt(0)
	v_add_f32_e32 v2, v8, v6
	v_add_f32_e32 v2, v45, v2
	;; [unrolled: 1-line block ×3, first 2 shown]
	v_mov_b32_e32 v46, v9
	s_mov_b32 s10, 0x3f62ad3f
	v_mov_b32_e32 v49, v26
	v_pk_add_f32 v[4:5], v[46:47], v[22:23]
	v_mov_b32_e32 v42, v27
	s_mov_b32 s11, 0xbeb58ec6
	s_mov_b32 s0, 0x3eedf032
	s_mov_b32 s12, 0x3df6dbef
	s_mov_b32 s13, s10
	v_pk_add_f32 v[34:35], v[8:9], v[36:37]
	v_pk_add_f32 v[32:33], v[48:49], v[10:11] neg_lo:[0,1] neg_hi:[0,1]
	v_pk_add_f32 v[24:25], v[42:43], v[20:21] neg_lo:[0,1] neg_hi:[0,1]
	v_pk_mul_f32 v[28:29], v[4:5], s[12:13]
	s_mov_b32 s14, 0xbf7e222b
	s_mov_b32 s15, s0
	;; [unrolled: 1-line block ×3, first 2 shown]
	v_mov_b32_e32 v58, v34
	v_mov_b32_e32 v59, v33
	s_mov_b32 s19, 0xbeedf032
	s_mov_b32 s18, s10
	v_pk_fma_f32 v[2:3], v[24:25], s[14:15], v[28:29] neg_lo:[1,0,0] neg_hi:[1,0,0]
	v_pk_fma_f32 v[28:29], v[24:25], s[14:15], v[28:29]
	s_mov_b32 s16, 0x3f116cb1
	v_pk_mul_f32 v[50:51], v[58:59], s[18:19]
	v_mov_b32_e32 v60, v25
	v_mov_b32_e32 v61, v32
	s_mov_b32 s15, s7
	v_add_f32_e32 v31, v45, v39
	v_mov_b32_e32 v30, v5
	s_mov_b32 s13, s16
	v_pk_mul_f32 v[40:41], v[60:61], s[14:15]
	v_sub_f32_e32 v37, v50, v51
	v_pk_fma_f32 v[52:53], v[30:31], s[12:13], v[40:41] neg_lo:[0,0,1] neg_hi:[0,0,1]
	v_add_f32_e32 v37, v37, v6
	s_mov_b32 s2, 0xbf3f9e67
	v_add_f32_e32 v37, v53, v37
	v_add_f32_e32 v37, v52, v37
	v_pk_mul_f32 v[52:53], v[4:5], s[10:11]
	s_mov_b32 s1, 0x3f6f5d39
	s_mov_b32 s19, 0xbf29c268
	;; [unrolled: 1-line block ×4, first 2 shown]
	v_pk_add_f32 v[68:69], v[12:13], v[14:15]
	v_pk_fma_f32 v[62:63], v[24:25], s[0:1], v[52:53] neg_lo:[1,0,0] neg_hi:[1,0,0]
	v_pk_fma_f32 v[52:53], v[24:25], s[0:1], v[52:53]
	s_mov_b32 s1, s19
	v_pk_add_f32 v[54:55], v[18:19], v[16:17] neg_lo:[0,1] neg_hi:[0,1]
	v_pk_mul_f32 v[70:71], v[68:69], s[20:21] op_sel:[1,0]
	v_pk_mul_f32 v[72:73], v[54:55], s[0:1] op_sel:[1,0]
	v_pk_fma_f32 v[56:57], v[54:55], s[0:1], v[70:71] op_sel:[1,0,0]
	s_mov_b32 s1, 0x3f7e222b
	s_mov_b32 s20, s7
	;; [unrolled: 1-line block ×3, first 2 shown]
	v_pk_mul_f32 v[60:61], v[60:61], s[20:21]
	s_mov_b32 s20, s2
	s_mov_b32 s21, s19
	;; [unrolled: 1-line block ×3, first 2 shown]
	v_pk_mul_f32 v[64:65], v[58:59], s[20:21]
	v_pk_mul_f32 v[74:75], v[4:5], s[16:17]
	s_mov_b32 s17, s12
	v_sub_f32_e32 v38, v64, v65
	v_add_f32_e32 v38, v38, v6
	v_pk_fma_f32 v[58:59], v[30:31], s[16:17], v[60:61] neg_lo:[0,0,1] neg_hi:[0,0,1]
	s_mov_b32 s21, s16
	v_add_f32_e32 v38, v59, v38
	v_add_f32_e32 v38, v58, v38
	s_mov_b32 s6, s19
	v_pk_mul_f32 v[58:59], v[68:69], s[20:21]
	s_mov_b32 s24, 0x3e750f2a
	v_pk_fma_f32 v[78:79], v[54:55], s[6:7], v[58:59] neg_lo:[1,0,0] neg_hi:[1,0,0]
	v_pk_fma_f32 v[58:59], v[54:55], s[6:7], v[58:59]
	s_mov_b32 s6, 0xbf6f5d39
	v_pk_mul_f32 v[80:81], v[24:25], s[6:7]
	v_mul_f32_e32 v77, 0xbeb58ec6, v4
	v_mov_b32_e32 v76, v71
	v_mov_b32_e32 v82, v73
	v_mov_b32_e32 v83, v80
	v_pk_mul_f32 v[84:85], v[24:25], s[24:25]
	v_pk_add_f32 v[82:83], v[76:77], v[82:83] neg_lo:[0,1] neg_hi:[0,1]
	v_mul_f32_e32 v71, 0xbf788fa5, v4
	v_mov_b32_e32 v73, v84
	s_mov_b32 s22, 0x3f29c268
	v_add_f32_e32 v37, v83, v37
	v_pk_add_f32 v[72:73], v[70:71], v[72:73] neg_lo:[0,1] neg_hi:[0,1]
	s_mov_b32 s20, s22
	s_mov_b32 s21, s6
	v_add_f32_e32 v82, v82, v37
	v_add_f32_e32 v37, v73, v38
	v_pk_mul_f32 v[88:89], v[32:33], s[20:21]
	v_add_f32_e32 v83, v72, v37
	v_pk_add_f32 v[72:73], v[12:13], v[34:35]
	v_mov_b32_e32 v37, v12
	v_mov_b32_e32 v86, 0xbeb58ec6
	;; [unrolled: 1-line block ×4, first 2 shown]
	v_pk_add_f32 v[72:73], v[72:73], v[36:37]
	v_pk_fma_f32 v[90:91], v[86:87], v[34:35], v[38:39] neg_lo:[0,0,1] neg_hi:[0,0,1]
	v_mov_b32_e32 v72, v6
	v_mov_b32_e32 v91, v73
	;; [unrolled: 1-line block ×3, first 2 shown]
	v_pk_add_f32 v[72:73], v[72:73], v[90:91]
	v_fma_f32 v88, v31, s2, -v88
	v_mov_b32_e32 v89, v15
	v_pk_add_f32 v[72:73], v[88:89], v[72:73]
	v_mov_b32_e32 v88, v3
	v_mov_b32_e32 v89, v22
	v_pk_add_f32 v[72:73], v[88:89], v[72:73]
	v_mov_b32_e32 v3, v23
	s_mov_b32 s3, 0xbf788fa5
	v_pk_add_f32 v[2:3], v[2:3], v[72:73]
	s_mov_b32 s18, 0x3f52af12
	v_pk_mul_f32 v[72:73], v[30:31], s[16:17]
	s_mov_b32 s17, s3
	v_pk_mul_f32 v[88:89], v[24:25], s[18:19]
	v_pk_fma_f32 v[90:91], v[24:25], s[18:19], v[74:75]
	s_mov_b32 s19, s24
	v_pk_mul_f32 v[92:93], v[68:69], s[16:17]
	v_mov_b32_e32 v96, v31
	v_pk_fma_f32 v[94:95], v[54:55], s[18:19], v[92:93] neg_lo:[1,0,0] neg_hi:[1,0,0]
	v_mov_b32_e32 v97, v34
	v_mov_b32_e32 v38, v95
	v_pk_add_f32 v[2:3], v[38:39], v[2:3]
	v_mov_b32_e32 v95, v36
	v_pk_add_f32 v[2:3], v[94:95], v[2:3]
	v_pk_mul_f32 v[94:95], v[4:5], s[2:3]
	s_mov_b32 s24, s11
	s_mov_b32 s25, s16
	;; [unrolled: 1-line block ×4, first 2 shown]
	v_pk_mul_f32 v[98:99], v[96:97], s[2:3]
	s_mov_b32 s2, s11
	v_pk_mul_f32 v[100:101], v[96:97], s[24:25]
	v_pk_mul_f32 v[102:103], v[32:33], s[6:7]
	v_pk_fma_f32 v[104:105], v[32:33], s[6:7], v[100:101]
	s_mov_b32 s7, s23
	v_pk_mul_f32 v[106:107], v[68:69], s[2:3] op_sel_hi:[0,1]
	v_pk_fma_f32 v[4:5], v[54:55], s[6:7], v[106:107] op_sel_hi:[0,1,1] neg_lo:[1,0,0] neg_hi:[1,0,0]
	s_mov_b32 s16, s10
	s_mov_b32 s17, s12
	v_pk_add_f32 v[4:5], v[4:5], v[82:83] op_sel:[1,0] op_sel_hi:[0,1]
	v_pk_mul_f32 v[82:83], v[68:69], s[16:17]
	v_pk_mul_f32 v[110:111], v[24:25], s[22:23]
	;; [unrolled: 1-line block ×3, first 2 shown]
	v_mov_b32_e32 v108, v83
	v_mov_b32_e32 v109, v94
	;; [unrolled: 1-line block ×4, first 2 shown]
	v_pk_add_f32 v[108:109], v[108:109], v[114:115] neg_lo:[0,1] neg_hi:[0,1]
	v_pk_fma_f32 v[114:115], v[24:25], s[22:23], v[94:95]
	v_mov_b32_e32 v24, v95
	v_mov_b32_e32 v25, v100
	v_sub_f32_e32 v42, v101, v103
	v_mov_b32_e32 v94, v111
	v_mov_b32_e32 v95, v102
	v_pk_add_f32 v[24:25], v[24:25], v[94:95] neg_lo:[0,1] neg_hi:[0,1]
	s_mov_b32 s22, s0
	v_add_f32_e32 v42, v42, v6
	v_pk_mul_f32 v[100:101], v[32:33], s[22:23]
	v_add_f32_e32 v25, v25, v42
	v_mov_b32_e32 v94, v75
	v_mov_b32_e32 v95, v98
	;; [unrolled: 1-line block ×4, first 2 shown]
	v_add_f32_e32 v42, v24, v25
	v_sub_f32_e32 v24, v99, v101
	v_pk_add_f32 v[94:95], v[94:95], v[102:103] neg_lo:[0,1] neg_hi:[0,1]
	v_add_f32_e32 v24, v24, v6
	v_add_f32_e32 v24, v95, v24
	;; [unrolled: 1-line block ×3, first 2 shown]
	v_pk_mul_f32 v[94:95], v[30:31], s[12:13]
	s_mov_b32 s13, s11
	s_mov_b32 s10, s1
	;; [unrolled: 1-line block ×3, first 2 shown]
	v_pk_mul_f32 v[68:69], v[68:69], s[12:13]
	v_mov_b32_e32 v75, v88
	v_pk_mul_f32 v[88:89], v[54:55], s[10:11]
	v_mov_b32_e32 v25, v74
	v_mov_b32_e32 v24, v69
	;; [unrolled: 1-line block ×3, first 2 shown]
	v_pk_add_f32 v[24:25], v[24:25], v[74:75] neg_lo:[0,1] neg_hi:[0,1]
	s_mov_b32 s2, s3
	s_mov_b32 s3, s12
	v_add_f32_e32 v25, v25, v46
	s_mov_b32 s16, s23
	s_mov_b32 s17, s14
	v_pk_mul_f32 v[96:97], v[96:97], s[2:3]
	v_add_f32_e32 v75, v24, v25
	v_pk_fma_f32 v[24:25], v[32:33], s[16:17], v[96:97] neg_lo:[1,0,0] neg_hi:[1,0,0]
	v_add_f32_e32 v30, v109, v42
	v_add_f32_e32 v25, v25, v6
	;; [unrolled: 1-line block ×4, first 2 shown]
	v_pk_fma_f32 v[24:25], v[32:33], s[22:23], v[98:99]
	v_pk_mul_f32 v[34:35], v[86:87], v[34:35]
	v_add_f32_e32 v25, v25, v6
	v_add_f32_e32 v24, v24, v25
	;; [unrolled: 1-line block ×6, first 2 shown]
	v_pk_fma_f32 v[62:63], v[54:55], s[10:11], v[68:69]
	v_add_f32_e32 v24, v79, v25
	v_add_f32_e32 v25, v63, v30
	;; [unrolled: 1-line block ×3, first 2 shown]
	v_mov_b32_e32 v62, v41
	v_mov_b32_e32 v63, v51
	v_mov_b32_e32 v51, v50
	v_mov_b32_e32 v50, v95
	v_mul_f32_e32 v30, 0xbf3f9e67, v31
	v_mov_b32_e32 v31, v34
	v_add_f32_e32 v24, v78, v24
	v_pk_add_f32 v[50:51], v[62:63], v[50:51]
	v_pk_fma_f32 v[62:63], v[32:33], s[16:17], v[96:97]
	v_pk_fma_f32 v[78:79], v[32:33], s[20:21], v[30:31]
	v_mov_b32_e32 v30, v61
	v_mov_b32_e32 v31, v65
	;; [unrolled: 1-line block ×4, first 2 shown]
	v_pk_add_f32 v[30:31], v[30:31], v[32:33]
	v_add_f32_e32 v32, v105, v6
	v_mov_b32_e32 v33, v40
	v_mov_b32_e32 v35, v94
	v_add_f32_e32 v42, v104, v32
	v_pk_add_f32 v[32:33], v[32:33], v[34:35]
	v_mov_b32_e32 v35, v60
	v_add_f32_e32 v32, v51, v6
	v_mov_b32_e32 v81, v33
	v_add_f32_e32 v33, v50, v32
	v_mov_b32_e32 v32, v77
	v_mov_b32_e32 v41, v72
	v_pk_add_f32 v[32:33], v[80:81], v[32:33]
	v_pk_add_f32 v[34:35], v[34:35], v[40:41]
	v_add_f32_e32 v31, v31, v6
	v_mov_b32_e32 v85, v35
	v_mov_b32_e32 v35, v32
	v_add_f32_e32 v31, v30, v31
	v_mov_b32_e32 v30, v71
	v_pk_add_f32 v[32:33], v[34:35], v[32:33]
	v_pk_add_f32 v[30:31], v[84:85], v[30:31]
	v_add_f32_e32 v32, v115, v42
	v_add_f32_e32 v46, v114, v32
	v_mov_b32_e32 v32, v31
	v_pk_add_f32 v[30:31], v[30:31], v[32:33]
	v_mov_b32_e32 v50, v79
	v_mov_b32_e32 v31, v33
	;; [unrolled: 1-line block ×3, first 2 shown]
	v_pk_add_f32 v[30:31], v[56:57], v[30:31]
	v_pk_fma_f32 v[32:33], v[54:55], s[6:7], v[106:107] op_sel_hi:[0,1,1]
	v_mov_b32_e32 v79, v62
	v_pk_add_f32 v[50:51], v[50:51], v[6:7] op_sel_hi:[1,0]
	v_pk_add_f32 v[32:33], v[32:33], v[30:31]
	v_pk_fma_f32 v[40:41], v[54:55], s[18:19], v[92:93]
	v_pk_fma_f32 v[30:31], v[54:55], s[0:1], v[82:83]
	v_pk_add_f32 v[50:51], v[78:79], v[50:51]
	v_mov_b32_e32 v54, v29
	v_mov_b32_e32 v55, v53
	v_pk_add_f32 v[50:51], v[54:55], v[50:51]
	v_mov_b32_e32 v29, v52
	v_mov_b32_e32 v83, v68
	v_mov_b32_e32 v113, v88
	v_pk_add_f32 v[28:29], v[28:29], v[50:51]
	v_mov_b32_e32 v50, v41
	v_mov_b32_e32 v51, v59
	v_mul_u32_u24_e32 v38, 0xd0, v44
	v_mad_u32_u24 v44, v66, 52, 0
	v_pk_add_f32 v[34:35], v[82:83], v[112:113] neg_lo:[0,1] neg_hi:[0,1]
	v_add_f32_e32 v31, v31, v46
	v_pk_add_f32 v[28:29], v[50:51], v[28:29]
	v_mov_b32_e32 v41, v58
	v_lshl_add_u32 v37, v38, 2, v44
	v_pk_add_f32 v[34:35], v[34:35], v[74:75]
	v_add_f32_e32 v30, v30, v31
	v_pk_add_f32 v[28:29], v[40:41], v[28:29]
	v_cmp_gt_u32_e64 s[0:1], 13, v66
	v_cmp_lt_u32_e64 s[2:3], 12, v66
	ds_write2_b32 v37, v3, v4 offset1:1
	v_mov_b32_e32 v49, v5
	ds_write2_b32 v37, v2, v5 offset0:4 offset1:5
	v_mov_b32_e32 v42, v35
	ds_write2_b32 v37, v35, v25 offset0:6 offset1:7
	ds_write2_b32 v37, v34, v24 offset0:2 offset1:3
	ds_write_b32 v37, v32 offset:32
	ds_write2_b32 v37, v28, v29 offset0:9 offset1:10
	ds_write2_b32 v37, v30, v33 offset0:11 offset1:12
	s_waitcnt lgkmcnt(0)
	; wave barrier
	s_waitcnt lgkmcnt(0)
                                        ; implicit-def: $vgpr40_vgpr41
	s_and_saveexec_b64 s[6:7], s[2:3]
	s_xor_b64 s[6:7], exec, s[6:7]
; %bb.12:
	v_mov_b32_e32 v40, v29
                                        ; implicit-def: $vgpr44
; %bb.13:
	s_or_saveexec_b64 s[6:7], s[6:7]
	v_lshlrev_b32_e32 v42, 2, v38
	v_lshlrev_b32_e32 v46, 2, v66
                                        ; implicit-def: $vgpr51
                                        ; implicit-def: $vgpr41
	s_xor_b64 exec, exec, s[6:7]
	s_cbranch_execz .LBB0_15
; %bb.14:
	v_mul_i32_i24_e32 v3, 0xffffffd0, v66
	v_add3_u32 v24, v44, v3, v42
	v_add3_u32 v2, 0, v42, v46
	ds_read2_b32 v[4:5], v24 offset0:13 offset1:26
	ds_read2_b32 v[52:53], v24 offset0:39 offset1:52
	;; [unrolled: 1-line block ×7, first 2 shown]
	ds_read_b32 v3, v2
	ds_read_b32 v41, v24 offset:780
	s_waitcnt lgkmcnt(8)
	v_mov_b32_e32 v34, v5
	s_waitcnt lgkmcnt(6)
	v_mov_b32_e32 v35, v55
	;; [unrolled: 2-line block ×3, first 2 shown]
	v_mov_b32_e32 v32, v57
	s_waitcnt lgkmcnt(3)
	v_mov_b32_e32 v33, v31
	v_mov_b32_e32 v24, v52
	;; [unrolled: 1-line block ×4, first 2 shown]
	s_waitcnt lgkmcnt(2)
	v_mov_b32_e32 v29, v50
	v_mov_b32_e32 v2, v53
.LBB0_15:
	s_or_b64 exec, exec, s[6:7]
	v_add_f32_e32 v31, v26, v7
	v_add_f32_e32 v31, v48, v31
	v_mov_b32_e32 v44, v47
	v_mov_b32_e32 v38, v23
	v_add_f32_e32 v49, v43, v31
	v_mov_b32_e32 v54, v43
	v_mov_b32_e32 v55, v48
	;; [unrolled: 1-line block ×4, first 2 shown]
	v_pk_add_f32 v[38:39], v[44:45], v[38:39] neg_lo:[0,1] neg_hi:[0,1]
	s_mov_b32 s10, 0xbf3f9e67
	v_mov_b32_e32 v48, v11
	s_mov_b32 s26, 0xbf52af12
	v_sub_f32_e32 v53, v8, v36
	v_pk_add_f32 v[54:55], v[54:55], v[56:57]
	s_mov_b32 s11, 0x3f62ad3f
	v_pk_add_f32 v[48:49], v[26:27], v[48:49]
	v_mov_b32_e32 v52, v39
	s_mov_b32 s27, 0xbeedf032
	s_mov_b32 s14, 0xbf788fa5
	;; [unrolled: 1-line block ×3, first 2 shown]
	v_mov_b32_e32 v62, 0xbeb58ec6
	v_mov_b32_e32 v63, v19
	v_pk_mul_f32 v[68:69], v[52:53], s[26:27]
	v_mov_b32_e32 v70, v55
	v_mov_b32_e32 v71, v48
	s_mov_b32 s20, 0x3f116cb1
	s_mov_b32 s21, s11
	;; [unrolled: 1-line block ×5, first 2 shown]
	v_pk_add_f32 v[64:65], v[18:19], v[48:49]
	v_pk_mul_f32 v[62:63], v[62:63], v[48:49]
	v_pk_mul_f32 v[72:73], v[70:71], s[20:21]
	v_pk_fma_f32 v[74:75], v[70:71], s[20:21], v[68:69] neg_lo:[0,0,1] neg_hi:[0,0,1]
	v_mov_b32_e32 v49, v53
	s_mov_b32 s21, s26
	s_mov_b32 s22, s14
	s_mov_b32 s23, s12
	s_mov_b32 s7, 0x3eedf032
	v_pk_mul_f32 v[76:77], v[48:49], s[20:21]
	v_pk_mul_f32 v[80:81], v[48:49], s[22:23]
	v_pk_mul_f32 v[44:45], v[38:39], s[6:7]
	v_pk_mul_f32 v[58:59], v[38:39], s[12:13]
	v_add_f32_e32 v8, v73, v69
	v_add_f32_e32 v23, v76, v77
	v_sub_f32_e32 v26, v76, v77
	v_add_f32_e32 v49, v80, v81
	v_sub_f32_e32 v50, v80, v81
	v_pk_fma_f32 v[56:57], v[54:55], s[10:11], v[44:45] neg_lo:[0,0,1] neg_hi:[0,0,1]
	v_pk_fma_f32 v[60:61], v[54:55], s[14:15], v[58:59] neg_lo:[0,0,1] neg_hi:[0,0,1]
	v_pk_fma_f32 v[58:59], v[54:55], s[14:15], v[58:59]
	v_pk_fma_f32 v[44:45], v[54:55], s[10:11], v[44:45]
	v_add_f32_e32 v31, v8, v7
	v_add_f32_e32 v8, v75, v7
	;; [unrolled: 1-line block ×4, first 2 shown]
	s_mov_b32 s18, 0x3df6dbef
	s_mov_b32 s16, 0x3f7e222b
	;; [unrolled: 1-line block ×4, first 2 shown]
	v_add_f32_e32 v49, v49, v7
	v_add_f32_e32 v50, v50, v7
	v_pk_mul_f32 v[76:77], v[52:53], s[16:17]
	v_pk_mul_f32 v[78:79], v[70:71], s[18:19]
	v_add_f32_e32 v52, v74, v8
	v_add_f32_e32 v8, v59, v23
	;; [unrolled: 1-line block ×8, first 2 shown]
	v_mov_b32_e32 v26, v19
	v_mov_b32_e32 v44, v17
	;; [unrolled: 1-line block ×3, first 2 shown]
	v_add_f32_e32 v49, v58, v8
	v_pk_add_f32 v[26:27], v[26:27], v[44:45]
	v_mov_b32_e32 v8, v13
	v_mov_b32_e32 v44, v15
	v_mov_b32_e32 v45, v22
	v_pk_add_f32 v[8:9], v[8:9], v[44:45] neg_lo:[0,1] neg_hi:[0,1]
	v_pk_fma_f32 v[70:71], v[70:71], s[18:19], v[76:77] neg_lo:[0,0,1] neg_hi:[0,0,1]
	v_add_f32_e32 v50, v60, v23
	v_mov_b32_e32 v22, v27
	v_mov_b32_e32 v23, v54
	s_mov_b32 s24, s15
	s_mov_b32 s25, s18
	v_mov_b32_e32 v56, v9
	v_mov_b32_e32 v57, v38
	s_mov_b32 s23, 0xbf7e222b
	s_mov_b32 s22, s13
	v_add_f32_e32 v47, v71, v7
	v_pk_mul_f32 v[44:45], v[22:23], s[24:25]
	v_pk_mul_f32 v[58:59], v[56:57], s[22:23]
	v_add_f32_e32 v47, v70, v47
	v_mov_b32_e32 v60, v45
	v_mov_b32_e32 v61, v72
	;; [unrolled: 1-line block ×4, first 2 shown]
	v_pk_add_f32 v[60:61], v[60:61], v[70:71]
	s_mov_b32 s28, 0x3e750f2a
	v_add_f32_e32 v31, v61, v31
	v_add_f32_e32 v31, v60, v31
	v_pk_fma_f32 v[60:61], v[22:23], s[24:25], v[58:59] neg_lo:[0,0,1] neg_hi:[0,0,1]
	s_mov_b32 s24, s14
	s_mov_b32 s25, s20
	;; [unrolled: 1-line block ×3, first 2 shown]
	v_pk_mul_f32 v[68:69], v[22:23], s[24:25]
	v_pk_mul_f32 v[56:57], v[56:57], s[28:29]
	v_mov_b32_e32 v70, v69
	v_mov_b32_e32 v71, v78
	;; [unrolled: 1-line block ×4, first 2 shown]
	v_add_f32_e32 v43, v43, v7
	v_pk_add_f32 v[70:71], v[70:71], v[72:73]
	s_mov_b32 s17, 0x3f29c268
	v_add_f32_e32 v43, v71, v43
	s_mov_b32 s27, 0x3f52af12
	s_mov_b32 s26, s13
	v_pk_mul_f32 v[74:75], v[8:9], s[16:17]
	v_add_f32_e32 v45, v61, v52
	v_add_f32_e32 v43, v70, v43
	v_pk_fma_f32 v[22:23], v[22:23], s[24:25], v[56:57] neg_lo:[0,0,1] neg_hi:[0,0,1]
	s_mov_b32 s30, s15
	s_mov_b32 s31, s20
	v_pk_mul_f32 v[70:71], v[8:9], s[26:27]
	v_pk_fma_f32 v[76:77], v[26:27], s[18:19], v[74:75] neg_lo:[0,0,1] neg_hi:[0,0,1]
	v_pk_fma_f32 v[74:75], v[26:27], s[18:19], v[74:75]
	v_add_f32_e32 v47, v23, v47
	v_pk_fma_f32 v[72:73], v[26:27], s[30:31], v[70:71] neg_lo:[0,0,1] neg_hi:[0,0,1]
	v_add_f32_e32 v23, v60, v45
	v_add_f32_e32 v45, v75, v49
	;; [unrolled: 1-line block ×3, first 2 shown]
	v_pk_fma_f32 v[60:61], v[26:27], s[30:31], v[70:71]
	s_mov_b32 s30, s11
	s_mov_b32 s31, s10
	;; [unrolled: 1-line block ×4, first 2 shown]
	v_add_f32_e32 v70, v74, v45
	v_add_f32_e32 v49, v76, v49
	v_pk_mul_f32 v[74:75], v[26:27], s[30:31] op_sel_hi:[0,1]
	v_pk_mul_f32 v[76:77], v[8:9], s[34:35] op_sel_hi:[0,1]
	v_add_f32_e32 v50, v73, v79
	v_mov_b32_e32 v78, v75
	v_mov_b32_e32 v79, v44
	;; [unrolled: 1-line block ×4, first 2 shown]
	v_pk_add_f32 v[44:45], v[78:79], v[44:45]
	v_mov_b32_e32 v75, v68
	v_mov_b32_e32 v58, v76
	;; [unrolled: 1-line block ×3, first 2 shown]
	v_add_f32_e32 v31, v45, v31
	v_pk_add_f32 v[56:57], v[74:75], v[58:59]
	v_pk_add_f32 v[14:15], v[12:13], v[14:15] neg_lo:[0,1] neg_hi:[0,1]
	v_mov_b32_e32 v12, v53
	v_add_f32_e32 v22, v22, v47
	v_add_f32_e32 v47, v61, v67
	;; [unrolled: 1-line block ×4, first 2 shown]
	v_pk_mul_f32 v[52:53], v[12:13], s[22:23] op_sel_hi:[0,1]
	s_mov_b32 s34, s17
	s_mov_b32 s35, s12
	v_mov_b32_e32 v63, v65
	v_add_f32_e32 v45, v56, v31
	v_pk_fma_f32 v[56:57], v[26:27], s[30:31], v[76:77] op_sel_hi:[0,1,1] neg_lo:[0,0,1] neg_hi:[0,0,1]
	v_add_f32_e32 v71, v60, v47
	s_mov_b32 s30, s10
	s_mov_b32 s31, s14
	v_pk_mul_f32 v[60:61], v[38:39], s[34:35] op_sel:[1,0]
	s_mov_b32 s35, 0x3f6f5d39
	s_mov_b32 s34, s7
	v_mov_b32_e32 v78, v52
	v_mov_b32_e32 v79, v18
	;; [unrolled: 1-line block ×4, first 2 shown]
	v_mul_f32_e32 v36, 0x3df6dbef, v48
	v_pk_add_f32 v[58:59], v[18:19], v[16:17]
	v_pk_fma_f32 v[68:69], v[54:55], s[30:31], v[60:61] op_sel:[1,0,0]
	v_pk_fma_f32 v[60:61], v[54:55], s[30:31], v[60:61] op_sel:[1,0,0] neg_lo:[0,0,1] neg_hi:[0,0,1]
	s_mov_b32 s30, s11
	s_mov_b32 s31, s15
	v_pk_mul_f32 v[38:39], v[38:39], s[34:35] op_sel_hi:[0,1]
	v_pk_add_f32 v[18:19], v[78:79], v[62:63]
	v_add_f32_e32 v31, v72, v50
	v_pk_fma_f32 v[72:73], v[54:55], s[30:31], v[38:39] op_sel_hi:[0,1,1]
	v_pk_add_f32 v[18:19], v[64:65], v[18:19]
	v_mov_b32_e32 v16, v68
	v_mov_b32_e32 v63, v36
	v_pk_add_f32 v[16:17], v[16:17], v[18:19]
	v_mov_b32_e32 v18, v72
	v_mov_b32_e32 v19, v20
	v_fmac_f32_e32 v53, 0x3df6dbef, v48
	v_pk_fma_f32 v[12:13], v[12:13], s[22:23], v[62:63] op_sel_hi:[0,1,1] neg_lo:[1,0,0] neg_hi:[1,0,0]
	v_pk_fma_f32 v[38:39], v[54:55], s[30:31], v[38:39] op_sel_hi:[0,1,1] neg_lo:[0,0,1] neg_hi:[0,0,1]
	s_mov_b32 s30, s23
	s_mov_b32 s31, s7
	v_pk_add_f32 v[16:17], v[18:19], v[16:17]
	v_mov_b32_e32 v19, v10
	v_add_f32_e32 v10, v53, v7
	v_pk_add_f32 v[6:7], v[12:13], v[6:7] op_sel:[0,1]
	s_mov_b32 s19, s11
	v_pk_mul_f32 v[54:55], v[8:9], s[30:31] op_sel:[1,0]
	v_pk_add_f32 v[6:7], v[60:61], v[6:7]
	v_pk_fma_f32 v[74:75], v[26:27], s[18:19], v[54:55] op_sel:[1,0,0]
	v_pk_fma_f32 v[54:55], v[26:27], s[18:19], v[54:55] op_sel:[1,0,0] neg_lo:[0,0,1] neg_hi:[0,0,1]
	v_pk_mul_f32 v[8:9], v[8:9], s[28:29] op_sel_hi:[0,1]
	v_add_f32_e32 v10, v69, v10
	v_pk_add_f32 v[6:7], v[38:39], v[6:7]
	v_pk_fma_f32 v[76:77], v[26:27], s[24:25], v[8:9] op_sel_hi:[0,1,1]
	v_mov_b32_e32 v20, v74
	v_add_f32_e32 v10, v73, v10
	v_pk_add_f32 v[6:7], v[54:55], v[6:7]
	v_pk_fma_f32 v[8:9], v[26:27], s[24:25], v[8:9] op_sel_hi:[0,1,1] neg_lo:[0,0,1] neg_hi:[0,0,1]
	s_mov_b32 s22, s27
	s_mov_b32 s23, s6
	v_pk_add_f32 v[16:17], v[20:21], v[16:17]
	v_mov_b32_e32 v18, v76
	v_add_f32_e32 v10, v75, v10
	v_pk_add_f32 v[8:9], v[8:9], v[6:7]
	s_mov_b32 s21, s10
	v_pk_mul_f32 v[6:7], v[14:15], s[22:23] op_sel_hi:[0,1]
	v_pk_add_f32 v[16:17], v[18:19], v[16:17]
	v_add_f32_e32 v10, v77, v10
	v_pk_fma_f32 v[18:19], v[58:59], s[20:21], v[6:7] op_sel_hi:[0,1,1]
	v_add_f32_e32 v12, v19, v10
	v_pk_fma_f32 v[20:21], v[58:59], s[20:21], v[6:7] op_sel_hi:[0,1,1] neg_lo:[0,0,1] neg_hi:[0,0,1]
	v_mov_b32_e32 v19, v11
	s_mov_b32 s20, s15
	s_mov_b32 s21, s14
	s_mov_b32 s14, s13
	s_mov_b32 s15, s12
	v_pk_add_f32 v[6:7], v[18:19], v[16:17]
	v_pk_mul_f32 v[16:17], v[14:15], s[14:15] op_sel_hi:[0,1]
	s_mov_b32 s6, s7
	s_mov_b32 s7, s16
	v_pk_add_f32 v[10:11], v[20:21], v[8:9]
	v_pk_fma_f32 v[8:9], v[58:59], s[20:21], v[16:17] op_sel_hi:[0,1,1]
	v_pk_add_f32 v[18:19], v[56:57], v[22:23]
	v_pk_fma_f32 v[16:17], v[58:59], s[20:21], v[16:17] op_sel_hi:[0,1,1] neg_lo:[0,0,1] neg_hi:[0,0,1]
	s_mov_b32 s10, s11
	s_mov_b32 s11, s18
	v_pk_mul_f32 v[14:15], v[14:15], s[6:7] op_sel_hi:[0,1]
	v_pk_add_f32 v[16:17], v[16:17], v[18:19]
	v_pk_fma_f32 v[18:19], v[58:59], s[10:11], v[14:15] op_sel_hi:[0,1,1]
	v_pk_fma_f32 v[14:15], v[58:59], s[10:11], v[14:15] op_sel_hi:[0,1,1] neg_lo:[0,0,1] neg_hi:[0,0,1]
	v_pk_add_f32 v[8:9], v[8:9], v[44:45] op_sel:[1,0] op_sel_hi:[0,1]
	v_add_f32_e32 v14, v14, v49
	v_pk_add_f32 v[18:19], v[18:19], v[70:71]
	v_add_f32_e32 v13, v15, v31
	s_waitcnt lgkmcnt(0)
	; wave barrier
	s_waitcnt lgkmcnt(0)
	ds_write2_b32 v37, v7, v8 offset1:1
	ds_write2_b32 v37, v18, v12 offset0:2 offset1:3
	v_mov_b32_e32 v15, v9
	ds_write2_b32 v37, v6, v9 offset0:4 offset1:5
	ds_write2_b32 v37, v19, v13 offset0:6 offset1:7
	ds_write_b32 v37, v16 offset:32
	ds_write2_b32 v37, v10, v11 offset0:9 offset1:10
	ds_write2_b32 v37, v14, v17 offset0:11 offset1:12
	s_waitcnt lgkmcnt(0)
	; wave barrier
	s_waitcnt lgkmcnt(0)
                                        ; implicit-def: $vgpr20_vgpr21
	s_and_saveexec_b64 s[6:7], s[2:3]
	s_xor_b64 s[2:3], exec, s[6:7]
; %bb.16:
	v_mov_b32_e32 v20, v11
                                        ; implicit-def: $vgpr42
                                        ; implicit-def: $vgpr46
; %bb.17:
	s_or_saveexec_b64 s[2:3], s[2:3]
                                        ; implicit-def: $vgpr23
                                        ; implicit-def: $vgpr21
	s_xor_b64 exec, exec, s[2:3]
	s_cbranch_execz .LBB0_20
; %bb.18:
	v_add3_u32 v12, 0, v46, v42
	v_add3_u32 v6, 0, v42, v46
	ds_read2_b32 v[8:9], v12 offset0:13 offset1:26
	ds_read2_b32 v[26:27], v12 offset0:39 offset1:52
	;; [unrolled: 1-line block ×7, first 2 shown]
	ds_read_b32 v7, v6
	ds_read_b32 v21, v12 offset:780
	s_waitcnt lgkmcnt(8)
	v_mov_b32_e32 v18, v9
	s_waitcnt lgkmcnt(6)
	v_mov_b32_e32 v19, v37
	;; [unrolled: 2-line block ×3, first 2 shown]
	v_mov_b32_e32 v16, v39
	s_waitcnt lgkmcnt(3)
	v_mov_b32_e32 v17, v15
	v_mov_b32_e32 v12, v26
	;; [unrolled: 1-line block ×4, first 2 shown]
	s_waitcnt lgkmcnt(2)
	v_mov_b32_e32 v11, v22
	v_mov_b32_e32 v6, v27
	s_or_b64 exec, exec, s[2:3]
	s_and_b64 s[0:1], vcc, s[0:1]
	s_and_saveexec_b64 s[2:3], s[0:1]
	s_cbranch_execnz .LBB0_21
.LBB0_19:
	s_endpgm
.LBB0_20:
	s_or_b64 exec, exec, s[2:3]
	s_and_b64 s[0:1], vcc, s[0:1]
	s_and_saveexec_b64 s[2:3], s[0:1]
	s_cbranch_execz .LBB0_19
.LBB0_21:
	v_mul_u32_u24_e32 v15, 15, v66
	v_lshlrev_b32_e32 v27, 3, v15
	global_load_dwordx4 v[68:71], v27, s[4:5] offset:16
	global_load_dwordx4 v[72:75], v27, s[4:5]
	global_load_dwordx4 v[76:79], v27, s[4:5] offset:32
	global_load_dwordx4 v[80:83], v27, s[4:5] offset:48
	;; [unrolled: 1-line block ×3, first 2 shown]
	global_load_dwordx2 v[64:65], v27, s[4:5] offset:112
	global_load_dwordx4 v[88:91], v27, s[4:5] offset:64
	global_load_dwordx4 v[92:95], v27, s[4:5] offset:80
	v_add_u32_e32 v47, 26, v66
	v_add_u32_e32 v61, 52, v66
	s_waitcnt lgkmcnt(0)
	v_mov_b32_e32 v15, v21
	v_mov_b32_e32 v21, v23
	;; [unrolled: 1-line block ×4, first 2 shown]
	v_mad_u64_u32 v[22:23], s[0:1], s8, v66, 0
	v_add_u32_e32 v37, 13, v66
	v_add_u32_e32 v63, 0x41, v66
	;; [unrolled: 1-line block ×3, first 2 shown]
	v_mad_u64_u32 v[42:43], s[0:1], s8, v47, 0
	v_mad_u64_u32 v[50:51], s[0:1], s8, v61, 0
	v_add_u32_e32 v49, 39, v66
	v_mov_b32_e32 v26, v23
	v_mad_u64_u32 v[38:39], s[0:1], s8, v37, 0
	v_mad_u64_u32 v[52:53], s[0:1], s8, v63, 0
	;; [unrolled: 1-line block ×3, first 2 shown]
	v_mov_b32_e32 v46, v43
	v_mov_b32_e32 v60, v51
	v_mad_u64_u32 v[44:45], s[0:1], s8, v49, 0
	v_mad_u64_u32 v[26:27], s[0:1], s9, v66, v[26:27]
	v_mov_b32_e32 v36, v39
	v_mov_b32_e32 v62, v53
	;; [unrolled: 1-line block ×3, first 2 shown]
	v_mad_u64_u32 v[46:47], s[0:1], s9, v47, v[46:47]
	v_mad_u64_u32 v[60:61], s[0:1], s9, v61, v[60:61]
	v_add_u32_e32 v100, 0x68, v66
	v_mov_b32_e32 v48, v45
	v_mov_b32_e32 v23, v26
	v_mad_u64_u32 v[26:27], s[0:1], s9, v37, v[36:37]
	v_mad_u64_u32 v[62:63], s[0:1], s9, v63, v[62:63]
	;; [unrolled: 1-line block ×3, first 2 shown]
	v_mov_b32_e32 v43, v46
	v_mov_b32_e32 v51, v60
	v_mad_u64_u32 v[58:59], s[0:1], s8, v100, 0
	v_mad_u64_u32 v[48:49], s[0:1], s9, v49, v[48:49]
	v_mov_b32_e32 v39, v26
	v_mov_b32_e32 v53, v62
	v_lshl_add_u64 v[46:47], v[42:43], 3, v[0:1]
	v_lshl_add_u64 v[42:43], v[50:51], 3, v[0:1]
	v_add_u32_e32 v99, 0x5b, v66
	v_mov_b32_e32 v45, v48
	v_lshl_add_u64 v[48:49], v[38:39], 3, v[0:1]
	v_lshl_add_u64 v[38:39], v[52:53], 3, v[0:1]
	v_mad_u64_u32 v[56:57], s[0:1], s8, v99, 0
	v_mov_b32_e32 v55, v96
	v_mov_b32_e32 v98, v57
	v_lshl_add_u64 v[26:27], v[54:55], 3, v[0:1]
	v_mad_u64_u32 v[98:99], s[0:1], s9, v99, v[98:99]
	v_mov_b32_e32 v57, v98
	v_lshl_add_u64 v[36:37], v[22:23], 3, v[0:1]
	v_lshl_add_u64 v[22:23], v[56:57], 3, v[0:1]
	;; [unrolled: 1-line block ×3, first 2 shown]
	s_mov_b32 s2, 0x3f6c835e
	s_mov_b32 s4, 0x3ec3ef15
	s_waitcnt vmcnt(7)
	v_mul_f32_e32 v67, v2, v71
	v_mul_f32_e32 v50, v6, v71
	v_fmac_f32_e32 v67, v6, v70
	v_add_u32_e32 v6, 0x75, v66
	v_fma_f32 v71, v2, v70, -v50
	v_mov_b32_e32 v2, v59
	v_mad_u64_u32 v[52:53], s[0:1], s8, v6, 0
	v_mad_u64_u32 v[50:51], s[0:1], s9, v100, v[2:3]
	v_mov_b32_e32 v2, v53
	v_mad_u64_u32 v[54:55], s[0:1], s9, v6, v[2:3]
	v_add_u32_e32 v6, 0x82, v66
	v_mov_b32_e32 v53, v54
	v_mad_u64_u32 v[54:55], s[0:1], s8, v6, 0
	v_mov_b32_e32 v2, v55
	v_mad_u64_u32 v[56:57], s[0:1], s9, v6, v[2:3]
	v_add_u32_e32 v6, 0x8f, v66
	v_mov_b32_e32 v55, v56
	v_mad_u64_u32 v[56:57], s[0:1], s8, v6, 0
	v_mov_b32_e32 v59, v50
	v_mov_b32_e32 v2, v57
	v_lshl_add_u64 v[50:51], v[58:59], 3, v[0:1]
	v_mad_u64_u32 v[58:59], s[0:1], s9, v6, v[2:3]
	v_add_u32_e32 v6, 0x9c, v66
	v_mov_b32_e32 v57, v58
	v_mad_u64_u32 v[58:59], s[0:1], s8, v6, 0
	v_mov_b32_e32 v2, v59
	v_mad_u64_u32 v[60:61], s[0:1], s9, v6, v[2:3]
	v_add_u32_e32 v6, 0xa9, v66
	v_mov_b32_e32 v59, v60
	v_mad_u64_u32 v[60:61], s[0:1], s8, v6, 0
	v_mov_b32_e32 v2, v61
	;; [unrolled: 5-line block ×4, first 2 shown]
	v_mad_u64_u32 v[98:99], s[0:1], s9, v6, v[2:3]
	v_mov_b32_e32 v97, v98
	v_lshl_add_u64 v[52:53], v[52:53], 3, v[0:1]
	v_lshl_add_u64 v[54:55], v[54:55], 3, v[0:1]
	;; [unrolled: 1-line block ×7, first 2 shown]
	s_waitcnt vmcnt(5)
	v_mov_b32_e32 v97, v78
	v_mov_b32_e32 v78, v75
	;; [unrolled: 1-line block ×3, first 2 shown]
	v_pk_mul_f32 v[74:75], v[18:19], v[78:79]
	s_waitcnt vmcnt(3)
	v_mov_b32_e32 v99, v86
	v_pk_fma_f32 v[74:75], v[34:35], v[96:97], v[74:75] neg_lo:[0,0,1] neg_hi:[0,0,1]
	s_waitcnt vmcnt(1)
	v_mov_b32_e32 v86, v91
	v_pk_mul_f32 v[34:35], v[34:35], v[78:79]
	v_mov_b32_e32 v78, v82
	s_waitcnt vmcnt(0)
	v_mov_b32_e32 v79, v94
	v_mov_b32_e32 v94, v83
	;; [unrolled: 1-line block ×3, first 2 shown]
	v_pk_mul_f32 v[90:91], v[20:21], v[86:87]
	v_pk_fma_f32 v[18:19], v[18:19], v[96:97], v[34:35]
	v_pk_mul_f32 v[34:35], v[40:41], v[86:87]
	v_pk_mul_f32 v[82:83], v[16:17], v[94:95]
	;; [unrolled: 1-line block ×3, first 2 shown]
	v_pk_fma_f32 v[90:91], v[40:41], v[98:99], v[90:91] neg_lo:[0,0,1] neg_hi:[0,0,1]
	v_pk_fma_f32 v[20:21], v[20:21], v[98:99], v[34:35]
	v_pk_fma_f32 v[82:83], v[32:33], v[78:79], v[82:83] neg_lo:[0,0,1] neg_hi:[0,0,1]
	v_mov_b32_e32 v70, v3
	v_pk_fma_f32 v[16:17], v[32:33], v[94:95], v[16:17]
	v_mov_b32_e32 v66, v7
	v_pk_add_f32 v[90:91], v[74:75], v[90:91] neg_lo:[0,1] neg_hi:[0,1]
	v_pk_add_f32 v[20:21], v[18:19], v[20:21] neg_lo:[0,1] neg_hi:[0,1]
	;; [unrolled: 1-line block ×4, first 2 shown]
	v_pk_add_f32 v[34:35], v[90:91], v[20:21] op_sel:[0,1] op_sel_hi:[1,0] neg_lo:[0,1] neg_hi:[0,1]
	v_pk_add_f32 v[40:41], v[90:91], v[20:21] op_sel:[0,1] op_sel_hi:[1,0]
	v_pk_add_f32 v[32:33], v[82:83], v[16:17] op_sel:[0,1] op_sel_hi:[1,0] neg_lo:[0,1] neg_hi:[0,1]
	v_pk_add_f32 v[78:79], v[82:83], v[16:17] op_sel:[0,1] op_sel_hi:[1,0]
	v_mov_b32_e32 v35, v41
	s_mov_b32 s0, 0x3f3504f3
	v_mov_b32_e32 v33, v79
	v_pk_mul_f32 v[40:41], v[34:35], s[0:1] op_sel_hi:[1,0]
	v_pk_fma_f32 v[86:87], v[34:35], s[0:1], v[32:33] op_sel_hi:[1,0,1]
	v_mov_b32_e32 v97, v64
	v_pk_add_f32 v[94:95], v[86:87], v[40:41] op_sel:[0,1] op_sel_hi:[1,0] neg_lo:[0,1] neg_hi:[0,1]
	v_pk_add_f32 v[40:41], v[86:87], v[40:41] op_sel:[0,1] op_sel_hi:[1,0]
	v_mov_b32_e32 v87, v80
	v_mov_b32_e32 v80, v69
	;; [unrolled: 1-line block ×3, first 2 shown]
	v_pk_mul_f32 v[68:69], v[12:13], v[80:81]
	v_mov_b32_e32 v64, v93
	v_pk_fma_f32 v[68:69], v[24:25], v[86:87], v[68:69] neg_lo:[0,0,1] neg_hi:[0,0,1]
	v_pk_mul_f32 v[24:25], v[24:25], v[80:81]
	v_mov_b32_e32 v96, v92
	v_pk_mul_f32 v[92:93], v[14:15], v[64:65]
	v_pk_fma_f32 v[12:13], v[12:13], v[86:87], v[24:25]
	v_pk_mul_f32 v[24:25], v[30:31], v[64:65]
	v_mov_b32_e32 v65, v76
	v_mov_b32_e32 v76, v73
	;; [unrolled: 1-line block ×3, first 2 shown]
	v_pk_mul_f32 v[72:73], v[8:9], v[76:77]
	v_mov_b32_e32 v81, v84
	v_pk_fma_f32 v[72:73], v[4:5], v[64:65], v[72:73] neg_lo:[0,0,1] neg_hi:[0,0,1]
	v_mov_b32_e32 v84, v89
	v_pk_mul_f32 v[4:5], v[4:5], v[76:77]
	v_mov_b32_e32 v80, v88
	v_pk_mul_f32 v[86:87], v[10:11], v[84:85]
	v_pk_fma_f32 v[4:5], v[8:9], v[64:65], v[4:5]
	v_pk_mul_f32 v[8:9], v[28:29], v[84:85]
	v_pk_fma_f32 v[92:93], v[30:31], v[96:97], v[92:93] neg_lo:[0,0,1] neg_hi:[0,0,1]
	v_pk_fma_f32 v[14:15], v[14:15], v[96:97], v[24:25]
	v_pk_fma_f32 v[86:87], v[28:29], v[80:81], v[86:87] neg_lo:[0,0,1] neg_hi:[0,0,1]
	v_pk_fma_f32 v[8:9], v[10:11], v[80:81], v[8:9]
	v_pk_add_f32 v[92:93], v[68:69], v[92:93] neg_lo:[0,1] neg_hi:[0,1]
	v_pk_add_f32 v[14:15], v[12:13], v[14:15] neg_lo:[0,1] neg_hi:[0,1]
	;; [unrolled: 1-line block ×4, first 2 shown]
	v_pk_add_f32 v[24:25], v[92:93], v[14:15] op_sel:[0,1] op_sel_hi:[1,0] neg_lo:[0,1] neg_hi:[0,1]
	v_pk_add_f32 v[30:31], v[92:93], v[14:15] op_sel:[0,1] op_sel_hi:[1,0]
	v_pk_add_f32 v[10:11], v[86:87], v[8:9] op_sel:[0,1] op_sel_hi:[1,0] neg_lo:[0,1] neg_hi:[0,1]
	v_pk_add_f32 v[28:29], v[86:87], v[8:9] op_sel:[0,1] op_sel_hi:[1,0]
	v_mov_b32_e32 v25, v31
	v_mov_b32_e32 v11, v29
	v_pk_mul_f32 v[30:31], v[24:25], s[0:1] op_sel_hi:[1,0]
	v_pk_fma_f32 v[64:65], v[24:25], s[0:1], v[10:11] op_sel_hi:[1,0,1]
	v_fma_f32 v2, v79, 2.0, -v41
	v_pk_add_f32 v[76:77], v[64:65], v[30:31] op_sel:[0,1] op_sel_hi:[1,0] neg_lo:[0,1] neg_hi:[0,1]
	v_pk_add_f32 v[30:31], v[64:65], v[30:31] op_sel:[0,1] op_sel_hi:[1,0]
	v_fma_f32 v6, v10, 2.0, -v76
	v_fma_f32 v30, v29, 2.0, -v31
	v_fmamk_f32 v29, v30, 0xbec3ef15, v2
	v_fmac_f32_e32 v29, 0x3f6c835e, v6
	v_mov_b32_e32 v77, v31
	v_fma_f32 v31, v2, 2.0, -v29
	v_fma_f32 v2, v32, 2.0, -v94
	v_mov_b32_e32 v95, v41
	v_fmamk_f32 v28, v6, 0xbec3ef15, v2
	v_pk_fma_f32 v[64:65], v[76:77], s[2:3], v[94:95] op_sel_hi:[1,0,1]
	v_pk_mul_f32 v[80:81], v[76:77], s[4:5] op_sel_hi:[1,0]
	v_fmac_f32_e32 v28, 0xbf6c835e, v30
	v_pk_add_f32 v[84:85], v[64:65], v[80:81] op_sel:[0,1] op_sel_hi:[1,0] neg_lo:[0,1] neg_hi:[0,1]
	v_pk_add_f32 v[64:65], v[64:65], v[80:81] op_sel:[0,1] op_sel_hi:[1,0]
	v_fma_f32 v30, v2, 2.0, -v28
	v_mov_b32_e32 v2, v3
	v_mov_b32_e32 v3, v74
	;; [unrolled: 1-line block ×6, first 2 shown]
	v_pk_fma_f32 v[2:3], v[2:3], 2.0, v[40:41] op_sel_hi:[1,0,1] neg_lo:[0,0,1] neg_hi:[0,0,1]
	v_mov_b32_e32 v40, v83
	v_mov_b32_e32 v41, v91
	v_mov_b32_e32 v6, v18
	v_mov_b32_e32 v64, v20
	v_mov_b32_e32 v65, v16
	v_mov_b32_e32 v66, v19
	v_mov_b32_e32 v18, v21
	v_mov_b32_e32 v19, v17
	v_pk_fma_f32 v[40:41], v[74:75], 2.0, v[40:41] op_sel_hi:[1,0,1] neg_lo:[0,0,1] neg_hi:[0,0,1]
	v_pk_fma_f32 v[6:7], v[6:7], 2.0, v[64:65] op_sel_hi:[1,0,1] neg_lo:[0,0,1] neg_hi:[0,0,1]
	;; [unrolled: 1-line block ×3, first 2 shown]
	v_pk_add_f32 v[40:41], v[2:3], v[40:41] neg_lo:[0,1] neg_hi:[0,1]
	v_pk_add_f32 v[18:19], v[6:7], v[18:19] neg_lo:[0,1] neg_hi:[0,1]
	v_mov_b32_e32 v70, v86
	v_pk_add_f32 v[64:65], v[40:41], v[18:19] neg_lo:[0,1] neg_hi:[0,1]
	v_pk_add_f32 v[66:67], v[40:41], v[18:19]
	v_mov_b32_e32 v71, v92
	v_mov_b32_e32 v65, v67
	;; [unrolled: 1-line block ×4, first 2 shown]
	v_pk_fma_f32 v[66:67], v[66:67], 2.0, v[70:71] op_sel_hi:[1,0,1] neg_lo:[0,0,1] neg_hi:[0,0,1]
	v_mov_b32_e32 v68, v73
	v_mov_b32_e32 v70, v87
	;; [unrolled: 1-line block ×7, first 2 shown]
	v_pk_fma_f32 v[68:69], v[68:69], 2.0, v[70:71] op_sel_hi:[1,0,1] neg_lo:[0,0,1] neg_hi:[0,0,1]
	v_mov_b32_e32 v70, v12
	v_mov_b32_e32 v71, v4
	;; [unrolled: 1-line block ×7, first 2 shown]
	v_pk_fma_f32 v[20:21], v[90:91], 2.0, v[34:35] op_sel_hi:[1,0,1] neg_lo:[0,0,1] neg_hi:[0,0,1]
	v_pk_fma_f32 v[16:17], v[82:83], 2.0, v[32:33] op_sel_hi:[1,0,1] neg_lo:[0,0,1] neg_hi:[0,0,1]
	;; [unrolled: 1-line block ×4, first 2 shown]
	v_pk_mul_f32 v[34:35], v[20:21], s[0:1] op_sel_hi:[1,0]
	v_pk_fma_f32 v[20:21], v[20:21], s[0:1], v[16:17] op_sel_hi:[1,0,1] neg_lo:[1,0,0] neg_hi:[1,0,0]
	v_pk_mul_f32 v[24:25], v[14:15], s[0:1] op_sel_hi:[1,0]
	v_pk_fma_f32 v[10:11], v[14:15], s[0:1], v[8:9] op_sel_hi:[1,0,1] neg_lo:[1,0,0] neg_hi:[1,0,0]
	v_pk_add_f32 v[32:33], v[20:21], v[34:35] op_sel:[0,1] op_sel_hi:[1,0] neg_lo:[0,1] neg_hi:[0,1]
	v_pk_add_f32 v[20:21], v[20:21], v[34:35] op_sel:[0,1] op_sel_hi:[1,0]
	v_pk_add_f32 v[14:15], v[10:11], v[24:25] op_sel:[0,1] op_sel_hi:[1,0] neg_lo:[0,1] neg_hi:[0,1]
	v_pk_add_f32 v[10:11], v[10:11], v[24:25] op_sel:[0,1] op_sel_hi:[1,0]
	v_mov_b32_e32 v33, v21
	v_mov_b32_e32 v15, v11
	v_pk_fma_f32 v[24:25], v[14:15], s[4:5], v[32:33] op_sel_hi:[1,0,1]
	v_pk_mul_f32 v[34:35], v[14:15], s[2:3] op_sel_hi:[1,0]
	v_fma_f32 v10, v17, 2.0, -v21
	v_fma_f32 v8, v8, 2.0, -v14
	;; [unrolled: 1-line block ×3, first 2 shown]
	v_fmamk_f32 v9, v14, 0xbf6c835e, v10
	v_fmac_f32_e32 v9, 0x3ec3ef15, v8
	v_pk_fma_f32 v[70:71], v[70:71], 2.0, v[72:73] op_sel_hi:[1,0,1] neg_lo:[0,0,1] neg_hi:[0,0,1]
	v_pk_fma_f32 v[4:5], v[4:5], 2.0, v[12:13] op_sel_hi:[1,0,1] neg_lo:[0,0,1] neg_hi:[0,0,1]
	v_fma_f32 v11, v10, 2.0, -v9
	v_fma_f32 v10, v16, 2.0, -v32
	v_pk_add_f32 v[68:69], v[66:67], v[68:69] neg_lo:[0,1] neg_hi:[0,1]
	v_pk_add_f32 v[4:5], v[70:71], v[4:5] neg_lo:[0,1] neg_hi:[0,1]
	v_fmamk_f32 v8, v8, 0xbf6c835e, v10
	v_pk_add_f32 v[12:13], v[68:69], v[4:5] neg_lo:[0,1] neg_hi:[0,1]
	v_pk_add_f32 v[72:73], v[68:69], v[4:5]
	v_fmac_f32_e32 v8, 0xbec3ef15, v14
	v_mov_b32_e32 v14, v2
	v_mov_b32_e32 v15, v7
	v_mov_b32_e32 v2, v3
	v_mov_b32_e32 v3, v6
	v_mov_b32_e32 v6, v41
	v_mov_b32_e32 v7, v18
	v_mov_b32_e32 v13, v73
	v_mov_b32_e32 v17, v19
	v_pk_fma_f32 v[2:3], v[2:3], 2.0, v[6:7] op_sel_hi:[1,0,1] neg_lo:[0,0,1] neg_hi:[0,0,1]
	v_mov_b32_e32 v6, v71
	v_mov_b32_e32 v7, v66
	;; [unrolled: 1-line block ×4, first 2 shown]
	v_pk_mul_f32 v[72:73], v[12:13], s[0:1] op_sel_hi:[1,0]
	v_pk_fma_f32 v[74:75], v[12:13], s[0:1], v[64:65] op_sel_hi:[1,0,1]
	v_mov_b32_e32 v16, v40
	v_pk_fma_f32 v[6:7], v[6:7], 2.0, v[18:19] op_sel_hi:[1,0,1] neg_lo:[0,0,1] neg_hi:[0,0,1]
	v_mov_b32_e32 v71, v67
	v_mov_b32_e32 v18, v4
	;; [unrolled: 1-line block ×3, first 2 shown]
	v_pk_add_f32 v[76:77], v[74:75], v[72:73] op_sel:[0,1] op_sel_hi:[1,0] neg_lo:[0,1] neg_hi:[0,1]
	v_pk_add_f32 v[72:73], v[74:75], v[72:73] op_sel:[0,1] op_sel_hi:[1,0]
	v_pk_fma_f32 v[14:15], v[14:15], 2.0, v[16:17] op_sel_hi:[1,0,1] neg_lo:[0,0,1] neg_hi:[0,0,1]
	v_pk_fma_f32 v[18:19], v[70:71], 2.0, v[18:19] op_sel_hi:[1,0,1] neg_lo:[0,0,1] neg_hi:[0,0,1]
	v_mov_b32_e32 v69, v5
	v_mov_b32_e32 v77, v73
	v_pk_add_f32 v[72:73], v[24:25], v[34:35] op_sel:[0,1] op_sel_hi:[1,0] neg_lo:[0,1] neg_hi:[0,1]
	v_pk_add_f32 v[24:25], v[24:25], v[34:35] op_sel:[0,1] op_sel_hi:[1,0]
	v_pk_add_f32 v[2:3], v[14:15], v[2:3] neg_lo:[0,1] neg_hi:[0,1]
	v_pk_add_f32 v[18:19], v[6:7], v[18:19] neg_lo:[0,1] neg_hi:[0,1]
	v_pk_fma_f32 v[16:17], v[16:17], 2.0, v[64:65] op_sel_hi:[1,0,1] neg_lo:[0,0,1] neg_hi:[0,0,1]
	v_pk_fma_f32 v[4:5], v[68:69], 2.0, v[12:13] op_sel_hi:[1,0,1] neg_lo:[0,0,1] neg_hi:[0,0,1]
	v_mov_b32_e32 v73, v25
	v_pk_add_f32 v[20:21], v[2:3], v[18:19] neg_lo:[0,1] neg_hi:[0,1]
	v_pk_add_f32 v[24:25], v[2:3], v[18:19]
	v_pk_mul_f32 v[12:13], v[4:5], s[0:1] op_sel_hi:[1,0]
	v_pk_fma_f32 v[4:5], v[4:5], s[0:1], v[16:17] op_sel_hi:[1,0,1] neg_lo:[1,0,0] neg_hi:[1,0,0]
	v_mov_b32_e32 v21, v25
	v_pk_add_f32 v[24:25], v[4:5], v[12:13] op_sel:[0,1] op_sel_hi:[1,0] neg_lo:[0,1] neg_hi:[0,1]
	v_pk_add_f32 v[4:5], v[4:5], v[12:13] op_sel:[0,1] op_sel_hi:[1,0]
	v_pk_fma_f32 v[6:7], v[6:7], 2.0, v[18:19] op_sel_hi:[1,0,1] neg_lo:[0,0,1] neg_hi:[0,0,1]
	v_mov_b32_e32 v25, v5
	v_pk_fma_f32 v[4:5], v[14:15], 2.0, v[2:3] op_sel_hi:[1,0,1] neg_lo:[0,0,1] neg_hi:[0,0,1]
	v_fma_f32 v10, v10, 2.0, -v8
	v_pk_add_f32 v[6:7], v[4:5], v[6:7] op_sel:[0,1] op_sel_hi:[1,0] neg_lo:[0,1] neg_hi:[0,1]
	v_pk_fma_f32 v[2:3], v[2:3], 2.0, v[20:21] op_sel_hi:[1,0,1] neg_lo:[0,0,1] neg_hi:[0,0,1]
	v_pk_fma_f32 v[4:5], v[4:5], 2.0, v[6:7] op_sel_hi:[1,0,1] neg_lo:[0,0,1] neg_hi:[0,0,1]
	global_store_dwordx2 v[36:37], v[4:5], off
	global_store_dwordx2 v[48:49], v[10:11], off
	v_pk_fma_f32 v[4:5], v[16:17], 2.0, v[24:25] op_sel_hi:[1,0,1] neg_lo:[0,0,1] neg_hi:[0,0,1]
	global_store_dwordx2 v[46:47], v[4:5], off
	global_store_dwordx2 v[44:45], v[30:31], off
	;; [unrolled: 1-line block ×3, first 2 shown]
	v_pk_fma_f32 v[2:3], v[32:33], 2.0, v[72:73] op_sel_hi:[1,0,1] neg_lo:[0,0,1] neg_hi:[0,0,1]
	global_store_dwordx2 v[38:39], v[2:3], off
	v_pk_fma_f32 v[2:3], v[64:65], 2.0, v[76:77] op_sel_hi:[1,0,1] neg_lo:[0,0,1] neg_hi:[0,0,1]
	global_store_dwordx2 v[26:27], v[2:3], off
	;; [unrolled: 2-line block ×3, first 2 shown]
	global_store_dwordx2 v[50:51], v[6:7], off
	global_store_dwordx2 v[52:53], v[8:9], off
	;; [unrolled: 1-line block ×8, first 2 shown]
	s_endpgm
	.section	.rodata,"a",@progbits
	.p2align	6, 0x0
	.amdhsa_kernel fft_rtc_fwd_len208_factors_13_16_wgs_64_tpt_16_halfLds_sp_ip_CI_sbrr_dirReg
		.amdhsa_group_segment_fixed_size 0
		.amdhsa_private_segment_fixed_size 0
		.amdhsa_kernarg_size 88
		.amdhsa_user_sgpr_count 2
		.amdhsa_user_sgpr_dispatch_ptr 0
		.amdhsa_user_sgpr_queue_ptr 0
		.amdhsa_user_sgpr_kernarg_segment_ptr 1
		.amdhsa_user_sgpr_dispatch_id 0
		.amdhsa_user_sgpr_kernarg_preload_length 0
		.amdhsa_user_sgpr_kernarg_preload_offset 0
		.amdhsa_user_sgpr_private_segment_size 0
		.amdhsa_uses_dynamic_stack 0
		.amdhsa_enable_private_segment 0
		.amdhsa_system_sgpr_workgroup_id_x 1
		.amdhsa_system_sgpr_workgroup_id_y 0
		.amdhsa_system_sgpr_workgroup_id_z 0
		.amdhsa_system_sgpr_workgroup_info 0
		.amdhsa_system_vgpr_workitem_id 0
		.amdhsa_next_free_vgpr 116
		.amdhsa_next_free_sgpr 36
		.amdhsa_accum_offset 116
		.amdhsa_reserve_vcc 1
		.amdhsa_float_round_mode_32 0
		.amdhsa_float_round_mode_16_64 0
		.amdhsa_float_denorm_mode_32 3
		.amdhsa_float_denorm_mode_16_64 3
		.amdhsa_dx10_clamp 1
		.amdhsa_ieee_mode 1
		.amdhsa_fp16_overflow 0
		.amdhsa_tg_split 0
		.amdhsa_exception_fp_ieee_invalid_op 0
		.amdhsa_exception_fp_denorm_src 0
		.amdhsa_exception_fp_ieee_div_zero 0
		.amdhsa_exception_fp_ieee_overflow 0
		.amdhsa_exception_fp_ieee_underflow 0
		.amdhsa_exception_fp_ieee_inexact 0
		.amdhsa_exception_int_div_zero 0
	.end_amdhsa_kernel
	.text
.Lfunc_end0:
	.size	fft_rtc_fwd_len208_factors_13_16_wgs_64_tpt_16_halfLds_sp_ip_CI_sbrr_dirReg, .Lfunc_end0-fft_rtc_fwd_len208_factors_13_16_wgs_64_tpt_16_halfLds_sp_ip_CI_sbrr_dirReg
                                        ; -- End function
	.section	.AMDGPU.csdata,"",@progbits
; Kernel info:
; codeLenInByte = 7776
; NumSgprs: 42
; NumVgprs: 116
; NumAgprs: 0
; TotalNumVgprs: 116
; ScratchSize: 0
; MemoryBound: 0
; FloatMode: 240
; IeeeMode: 1
; LDSByteSize: 0 bytes/workgroup (compile time only)
; SGPRBlocks: 5
; VGPRBlocks: 14
; NumSGPRsForWavesPerEU: 42
; NumVGPRsForWavesPerEU: 116
; AccumOffset: 116
; Occupancy: 4
; WaveLimiterHint : 1
; COMPUTE_PGM_RSRC2:SCRATCH_EN: 0
; COMPUTE_PGM_RSRC2:USER_SGPR: 2
; COMPUTE_PGM_RSRC2:TRAP_HANDLER: 0
; COMPUTE_PGM_RSRC2:TGID_X_EN: 1
; COMPUTE_PGM_RSRC2:TGID_Y_EN: 0
; COMPUTE_PGM_RSRC2:TGID_Z_EN: 0
; COMPUTE_PGM_RSRC2:TIDIG_COMP_CNT: 0
; COMPUTE_PGM_RSRC3_GFX90A:ACCUM_OFFSET: 28
; COMPUTE_PGM_RSRC3_GFX90A:TG_SPLIT: 0
	.text
	.p2alignl 6, 3212836864
	.fill 256, 4, 3212836864
	.type	__hip_cuid_37565d35e24d6c2d,@object ; @__hip_cuid_37565d35e24d6c2d
	.section	.bss,"aw",@nobits
	.globl	__hip_cuid_37565d35e24d6c2d
__hip_cuid_37565d35e24d6c2d:
	.byte	0                               ; 0x0
	.size	__hip_cuid_37565d35e24d6c2d, 1

	.ident	"AMD clang version 19.0.0git (https://github.com/RadeonOpenCompute/llvm-project roc-6.4.0 25133 c7fe45cf4b819c5991fe208aaa96edf142730f1d)"
	.section	".note.GNU-stack","",@progbits
	.addrsig
	.addrsig_sym __hip_cuid_37565d35e24d6c2d
	.amdgpu_metadata
---
amdhsa.kernels:
  - .agpr_count:     0
    .args:
      - .actual_access:  read_only
        .address_space:  global
        .offset:         0
        .size:           8
        .value_kind:     global_buffer
      - .offset:         8
        .size:           8
        .value_kind:     by_value
      - .actual_access:  read_only
        .address_space:  global
        .offset:         16
        .size:           8
        .value_kind:     global_buffer
      - .actual_access:  read_only
        .address_space:  global
        .offset:         24
        .size:           8
        .value_kind:     global_buffer
      - .offset:         32
        .size:           8
        .value_kind:     by_value
      - .actual_access:  read_only
        .address_space:  global
        .offset:         40
        .size:           8
        .value_kind:     global_buffer
      - .actual_access:  read_only
        .address_space:  global
        .offset:         48
        .size:           8
        .value_kind:     global_buffer
      - .offset:         56
        .size:           4
        .value_kind:     by_value
      - .actual_access:  read_only
        .address_space:  global
        .offset:         64
        .size:           8
        .value_kind:     global_buffer
      - .actual_access:  read_only
        .address_space:  global
        .offset:         72
        .size:           8
        .value_kind:     global_buffer
      - .address_space:  global
        .offset:         80
        .size:           8
        .value_kind:     global_buffer
    .group_segment_fixed_size: 0
    .kernarg_segment_align: 8
    .kernarg_segment_size: 88
    .language:       OpenCL C
    .language_version:
      - 2
      - 0
    .max_flat_workgroup_size: 64
    .name:           fft_rtc_fwd_len208_factors_13_16_wgs_64_tpt_16_halfLds_sp_ip_CI_sbrr_dirReg
    .private_segment_fixed_size: 0
    .sgpr_count:     42
    .sgpr_spill_count: 0
    .symbol:         fft_rtc_fwd_len208_factors_13_16_wgs_64_tpt_16_halfLds_sp_ip_CI_sbrr_dirReg.kd
    .uniform_work_group_size: 1
    .uses_dynamic_stack: false
    .vgpr_count:     116
    .vgpr_spill_count: 0
    .wavefront_size: 64
amdhsa.target:   amdgcn-amd-amdhsa--gfx950
amdhsa.version:
  - 1
  - 2
...

	.end_amdgpu_metadata
